;; amdgpu-corpus repo=ROCm/rocFFT kind=compiled arch=gfx906 opt=O3
	.text
	.amdgcn_target "amdgcn-amd-amdhsa--gfx906"
	.amdhsa_code_object_version 6
	.protected	fft_rtc_back_len84_factors_7_2_6_wgs_120_tpt_12_halfLds_half_op_CI_CI_unitstride_sbrr_C2R_dirReg ; -- Begin function fft_rtc_back_len84_factors_7_2_6_wgs_120_tpt_12_halfLds_half_op_CI_CI_unitstride_sbrr_C2R_dirReg
	.globl	fft_rtc_back_len84_factors_7_2_6_wgs_120_tpt_12_halfLds_half_op_CI_CI_unitstride_sbrr_C2R_dirReg
	.p2align	8
	.type	fft_rtc_back_len84_factors_7_2_6_wgs_120_tpt_12_halfLds_half_op_CI_CI_unitstride_sbrr_C2R_dirReg,@function
fft_rtc_back_len84_factors_7_2_6_wgs_120_tpt_12_halfLds_half_op_CI_CI_unitstride_sbrr_C2R_dirReg: ; @fft_rtc_back_len84_factors_7_2_6_wgs_120_tpt_12_halfLds_half_op_CI_CI_unitstride_sbrr_C2R_dirReg
; %bb.0:
	v_mul_u32_u24_e32 v1, 0x1556, v0
	s_load_dwordx4 s[8:11], s[4:5], 0x58
	s_load_dwordx4 s[12:15], s[4:5], 0x0
	;; [unrolled: 1-line block ×3, first 2 shown]
	v_lshrrev_b32_e32 v1, 16, v1
	v_mad_u64_u32 v[8:9], s[0:1], s6, 10, v[1:2]
	v_mov_b32_e32 v10, 0
	s_waitcnt lgkmcnt(0)
	v_cmp_lt_u64_e64 s[0:1], s[14:15], 2
	v_mov_b32_e32 v6, 0
	v_mov_b32_e32 v9, v10
	;; [unrolled: 1-line block ×5, first 2 shown]
	s_and_b64 vcc, exec, s[0:1]
	v_mov_b32_e32 v2, v7
	v_mov_b32_e32 v4, v9
	s_cbranch_vccnz .LBB0_8
; %bb.1:
	s_load_dwordx2 s[0:1], s[4:5], 0x10
	s_add_u32 s2, s18, 8
	s_addc_u32 s3, s19, 0
	s_add_u32 s6, s16, 8
	s_addc_u32 s7, s17, 0
	v_mov_b32_e32 v6, 0
	s_waitcnt lgkmcnt(0)
	s_add_u32 s20, s0, 8
	v_mov_b32_e32 v7, 0
	v_mov_b32_e32 v1, v6
	;; [unrolled: 1-line block ×3, first 2 shown]
	s_addc_u32 s21, s1, 0
	s_mov_b64 s[22:23], 1
	v_mov_b32_e32 v2, v7
	v_mov_b32_e32 v12, v8
.LBB0_2:                                ; =>This Inner Loop Header: Depth=1
	s_load_dwordx2 s[24:25], s[20:21], 0x0
                                        ; implicit-def: $vgpr3_vgpr4
	s_waitcnt lgkmcnt(0)
	v_or_b32_e32 v11, s25, v13
	v_cmp_ne_u64_e32 vcc, 0, v[10:11]
	s_and_saveexec_b64 s[0:1], vcc
	s_xor_b64 s[26:27], exec, s[0:1]
	s_cbranch_execz .LBB0_4
; %bb.3:                                ;   in Loop: Header=BB0_2 Depth=1
	v_cvt_f32_u32_e32 v3, s24
	v_cvt_f32_u32_e32 v4, s25
	s_sub_u32 s0, 0, s24
	s_subb_u32 s1, 0, s25
	v_mac_f32_e32 v3, 0x4f800000, v4
	v_rcp_f32_e32 v3, v3
	v_mul_f32_e32 v3, 0x5f7ffffc, v3
	v_mul_f32_e32 v4, 0x2f800000, v3
	v_trunc_f32_e32 v4, v4
	v_mac_f32_e32 v3, 0xcf800000, v4
	v_cvt_u32_f32_e32 v4, v4
	v_cvt_u32_f32_e32 v3, v3
	v_mul_lo_u32 v5, s0, v4
	v_mul_hi_u32 v9, s0, v3
	v_mul_lo_u32 v14, s1, v3
	v_mul_lo_u32 v11, s0, v3
	v_add_u32_e32 v5, v9, v5
	v_add_u32_e32 v5, v5, v14
	v_mul_hi_u32 v9, v3, v11
	v_mul_lo_u32 v14, v3, v5
	v_mul_hi_u32 v16, v3, v5
	v_mul_hi_u32 v15, v4, v11
	v_mul_lo_u32 v11, v4, v11
	v_mul_hi_u32 v17, v4, v5
	v_add_co_u32_e32 v9, vcc, v9, v14
	v_addc_co_u32_e32 v14, vcc, 0, v16, vcc
	v_mul_lo_u32 v5, v4, v5
	v_add_co_u32_e32 v9, vcc, v9, v11
	v_addc_co_u32_e32 v9, vcc, v14, v15, vcc
	v_addc_co_u32_e32 v11, vcc, 0, v17, vcc
	v_add_co_u32_e32 v5, vcc, v9, v5
	v_addc_co_u32_e32 v9, vcc, 0, v11, vcc
	v_add_co_u32_e32 v3, vcc, v3, v5
	v_addc_co_u32_e32 v4, vcc, v4, v9, vcc
	v_mul_lo_u32 v5, s0, v4
	v_mul_hi_u32 v9, s0, v3
	v_mul_lo_u32 v11, s1, v3
	v_mul_lo_u32 v14, s0, v3
	v_add_u32_e32 v5, v9, v5
	v_add_u32_e32 v5, v5, v11
	v_mul_lo_u32 v15, v3, v5
	v_mul_hi_u32 v16, v3, v14
	v_mul_hi_u32 v17, v3, v5
	;; [unrolled: 1-line block ×3, first 2 shown]
	v_mul_lo_u32 v14, v4, v14
	v_mul_hi_u32 v9, v4, v5
	v_add_co_u32_e32 v15, vcc, v16, v15
	v_addc_co_u32_e32 v16, vcc, 0, v17, vcc
	v_mul_lo_u32 v5, v4, v5
	v_add_co_u32_e32 v14, vcc, v15, v14
	v_addc_co_u32_e32 v11, vcc, v16, v11, vcc
	v_addc_co_u32_e32 v9, vcc, 0, v9, vcc
	v_add_co_u32_e32 v5, vcc, v11, v5
	v_addc_co_u32_e32 v9, vcc, 0, v9, vcc
	v_add_co_u32_e32 v5, vcc, v3, v5
	v_addc_co_u32_e32 v9, vcc, v4, v9, vcc
	v_mad_u64_u32 v[3:4], s[0:1], v12, v9, 0
	v_mul_hi_u32 v11, v12, v5
	v_mad_u64_u32 v[14:15], s[0:1], v13, v9, 0
	v_add_co_u32_e32 v11, vcc, v11, v3
	v_addc_co_u32_e32 v16, vcc, 0, v4, vcc
	v_mad_u64_u32 v[3:4], s[0:1], v13, v5, 0
	v_add_co_u32_e32 v3, vcc, v11, v3
	v_addc_co_u32_e32 v3, vcc, v16, v4, vcc
	v_addc_co_u32_e32 v4, vcc, 0, v15, vcc
	v_add_co_u32_e32 v5, vcc, v3, v14
	v_addc_co_u32_e32 v9, vcc, 0, v4, vcc
	v_mul_lo_u32 v11, s25, v5
	v_mul_lo_u32 v14, s24, v9
	v_mad_u64_u32 v[3:4], s[0:1], s24, v5, 0
	v_add3_u32 v4, v4, v14, v11
	v_sub_u32_e32 v11, v13, v4
	v_mov_b32_e32 v14, s25
	v_sub_co_u32_e32 v3, vcc, v12, v3
	v_subb_co_u32_e64 v11, s[0:1], v11, v14, vcc
	v_subrev_co_u32_e64 v14, s[0:1], s24, v3
	v_subbrev_co_u32_e64 v11, s[0:1], 0, v11, s[0:1]
	v_cmp_le_u32_e64 s[0:1], s25, v11
	v_cndmask_b32_e64 v15, 0, -1, s[0:1]
	v_cmp_le_u32_e64 s[0:1], s24, v14
	v_cndmask_b32_e64 v14, 0, -1, s[0:1]
	v_cmp_eq_u32_e64 s[0:1], s25, v11
	v_cndmask_b32_e64 v11, v15, v14, s[0:1]
	v_add_co_u32_e64 v14, s[0:1], 2, v5
	v_addc_co_u32_e64 v15, s[0:1], 0, v9, s[0:1]
	v_add_co_u32_e64 v16, s[0:1], 1, v5
	v_addc_co_u32_e64 v17, s[0:1], 0, v9, s[0:1]
	v_subb_co_u32_e32 v4, vcc, v13, v4, vcc
	v_cmp_ne_u32_e64 s[0:1], 0, v11
	v_cmp_le_u32_e32 vcc, s25, v4
	v_cndmask_b32_e64 v11, v17, v15, s[0:1]
	v_cndmask_b32_e64 v15, 0, -1, vcc
	v_cmp_le_u32_e32 vcc, s24, v3
	v_cndmask_b32_e64 v3, 0, -1, vcc
	v_cmp_eq_u32_e32 vcc, s25, v4
	v_cndmask_b32_e32 v3, v15, v3, vcc
	v_cmp_ne_u32_e32 vcc, 0, v3
	v_cndmask_b32_e64 v3, v16, v14, s[0:1]
	v_cndmask_b32_e32 v4, v9, v11, vcc
	v_cndmask_b32_e32 v3, v5, v3, vcc
.LBB0_4:                                ;   in Loop: Header=BB0_2 Depth=1
	s_andn2_saveexec_b64 s[0:1], s[26:27]
	s_cbranch_execz .LBB0_6
; %bb.5:                                ;   in Loop: Header=BB0_2 Depth=1
	v_cvt_f32_u32_e32 v3, s24
	s_sub_i32 s26, 0, s24
	v_rcp_iflag_f32_e32 v3, v3
	v_mul_f32_e32 v3, 0x4f7ffffe, v3
	v_cvt_u32_f32_e32 v3, v3
	v_mul_lo_u32 v4, s26, v3
	v_mul_hi_u32 v4, v3, v4
	v_add_u32_e32 v3, v3, v4
	v_mul_hi_u32 v3, v12, v3
	v_mul_lo_u32 v4, v3, s24
	v_add_u32_e32 v5, 1, v3
	v_sub_u32_e32 v4, v12, v4
	v_subrev_u32_e32 v9, s24, v4
	v_cmp_le_u32_e32 vcc, s24, v4
	v_cndmask_b32_e32 v4, v4, v9, vcc
	v_cndmask_b32_e32 v3, v3, v5, vcc
	v_add_u32_e32 v5, 1, v3
	v_cmp_le_u32_e32 vcc, s24, v4
	v_cndmask_b32_e32 v3, v3, v5, vcc
	v_mov_b32_e32 v4, v10
.LBB0_6:                                ;   in Loop: Header=BB0_2 Depth=1
	s_or_b64 exec, exec, s[0:1]
	v_mul_lo_u32 v5, v4, s24
	v_mul_lo_u32 v9, v3, s25
	v_mad_u64_u32 v[14:15], s[0:1], v3, s24, 0
	s_load_dwordx2 s[0:1], s[6:7], 0x0
	s_load_dwordx2 s[24:25], s[2:3], 0x0
	v_add3_u32 v5, v15, v9, v5
	v_sub_co_u32_e32 v9, vcc, v12, v14
	v_subb_co_u32_e32 v5, vcc, v13, v5, vcc
	s_waitcnt lgkmcnt(0)
	v_mul_lo_u32 v11, s0, v5
	v_mul_lo_u32 v12, s1, v9
	v_mad_u64_u32 v[6:7], s[0:1], s0, v9, v[6:7]
	s_add_u32 s22, s22, 1
	s_addc_u32 s23, s23, 0
	s_add_u32 s2, s2, 8
	v_mul_lo_u32 v5, s24, v5
	v_mul_lo_u32 v13, s25, v9
	v_mad_u64_u32 v[1:2], s[0:1], s24, v9, v[1:2]
	v_add3_u32 v7, v12, v7, v11
	s_addc_u32 s3, s3, 0
	v_mov_b32_e32 v11, s14
	s_add_u32 s6, s6, 8
	v_mov_b32_e32 v12, s15
	s_addc_u32 s7, s7, 0
	v_cmp_ge_u64_e32 vcc, s[22:23], v[11:12]
	s_add_u32 s20, s20, 8
	v_add3_u32 v2, v13, v2, v5
	s_addc_u32 s21, s21, 0
	s_cbranch_vccnz .LBB0_8
; %bb.7:                                ;   in Loop: Header=BB0_2 Depth=1
	v_mov_b32_e32 v13, v4
	v_mov_b32_e32 v12, v3
	s_branch .LBB0_2
.LBB0_8:
	s_mov_b32 s0, 0xcccccccd
	v_mul_hi_u32 v5, v8, s0
	s_load_dwordx2 s[0:1], s[4:5], 0x28
	s_lshl_b64 s[6:7], s[14:15], 3
	s_add_u32 s4, s18, s6
	v_lshrrev_b32_e32 v5, 3, v5
	v_mul_lo_u32 v5, v5, 10
	s_waitcnt lgkmcnt(0)
	v_cmp_gt_u64_e32 vcc, s[0:1], v[3:4]
	v_cmp_le_u64_e64 s[0:1], s[0:1], v[3:4]
	s_addc_u32 s5, s19, s7
	v_sub_u32_e32 v8, v8, v5
                                        ; implicit-def: $vgpr5
	s_and_saveexec_b64 s[2:3], s[0:1]
	s_xor_b64 s[0:1], exec, s[2:3]
; %bb.9:
	s_mov_b32 s2, 0x15555556
	v_mul_hi_u32 v5, v0, s2
                                        ; implicit-def: $vgpr6_vgpr7
	v_mul_u32_u24_e32 v5, 12, v5
	v_sub_u32_e32 v5, v0, v5
                                        ; implicit-def: $vgpr0
; %bb.10:
	s_or_saveexec_b64 s[2:3], s[0:1]
	s_load_dwordx2 s[4:5], s[4:5], 0x0
	v_mul_u32_u24_e32 v8, 0x55, v8
	v_lshlrev_b32_e32 v12, 2, v8
	s_xor_b64 exec, exec, s[2:3]
	s_cbranch_execz .LBB0_14
; %bb.11:
	s_add_u32 s0, s16, s6
	s_addc_u32 s1, s17, s7
	s_load_dwordx2 s[0:1], s[0:1], 0x0
	s_mov_b32 s6, 0x15555556
	v_mul_hi_u32 v5, v0, s6
	v_lshlrev_b64 v[6:7], 2, v[6:7]
	s_waitcnt lgkmcnt(0)
	v_mul_lo_u32 v11, s1, v3
	v_mul_lo_u32 v13, s0, v4
	v_mad_u64_u32 v[9:10], s[0:1], s0, v3, 0
	v_mul_u32_u24_e32 v5, 12, v5
	v_sub_u32_e32 v5, v0, v5
	v_add3_u32 v10, v10, v13, v11
	v_lshlrev_b64 v[9:10], 2, v[9:10]
	v_mov_b32_e32 v0, s9
	v_add_co_u32_e64 v9, s[0:1], s8, v9
	v_addc_co_u32_e64 v0, s[0:1], v0, v10, s[0:1]
	v_add_co_u32_e64 v6, s[0:1], v9, v6
	v_addc_co_u32_e64 v7, s[0:1], v0, v7, s[0:1]
	v_lshlrev_b32_e32 v0, 2, v5
	v_add_co_u32_e64 v9, s[0:1], v6, v0
	v_addc_co_u32_e64 v10, s[0:1], 0, v7, s[0:1]
	global_load_dword v11, v[9:10], off
	global_load_dword v13, v[9:10], off offset:48
	global_load_dword v14, v[9:10], off offset:96
	;; [unrolled: 1-line block ×6, first 2 shown]
	v_add3_u32 v0, 0, v12, v0
	v_cmp_eq_u32_e64 s[0:1], 11, v5
	s_waitcnt vmcnt(5)
	ds_write2_b32 v0, v11, v13 offset1:12
	s_waitcnt vmcnt(3)
	ds_write2_b32 v0, v14, v15 offset0:24 offset1:36
	s_waitcnt vmcnt(1)
	ds_write2_b32 v0, v16, v17 offset0:48 offset1:60
	s_waitcnt vmcnt(0)
	ds_write_b32 v0, v18 offset:288
	s_and_saveexec_b64 s[6:7], s[0:1]
	s_cbranch_execz .LBB0_13
; %bb.12:
	global_load_dword v5, v[6:7], off offset:336
	s_waitcnt vmcnt(0)
	ds_write_b32 v0, v5 offset:292
	v_mov_b32_e32 v5, 11
.LBB0_13:
	s_or_b64 exec, exec, s[6:7]
.LBB0_14:
	s_or_b64 exec, exec, s[2:3]
	v_lshl_add_u32 v0, v8, 2, 0
	v_lshlrev_b32_e32 v8, 2, v5
	v_add_u32_e32 v17, v0, v8
	s_waitcnt lgkmcnt(0)
	s_barrier
	v_sub_u32_e32 v9, v0, v8
	ds_read_u16 v13, v17
	ds_read_u16 v14, v9 offset:336
	v_cmp_ne_u32_e64 s[0:1], 0, v5
                                        ; implicit-def: $vgpr6_vgpr7
	s_waitcnt lgkmcnt(0)
	v_add_f16_e32 v10, v14, v13
	v_sub_f16_e32 v11, v13, v14
	s_and_saveexec_b64 s[2:3], s[0:1]
	s_xor_b64 s[2:3], exec, s[2:3]
	s_cbranch_execz .LBB0_16
; %bb.15:
	v_mov_b32_e32 v6, 0
	v_lshlrev_b64 v[10:11], 2, v[5:6]
	v_mov_b32_e32 v7, s13
	v_add_co_u32_e64 v10, s[0:1], s12, v10
	v_addc_co_u32_e64 v11, s[0:1], v7, v11, s[0:1]
	global_load_dword v7, v[10:11], off offset:308
	ds_read_u16 v10, v9 offset:338
	ds_read_u16 v11, v17 offset:2
	v_add_f16_e32 v15, v14, v13
	v_sub_f16_e32 v13, v13, v14
	s_waitcnt lgkmcnt(0)
	v_add_f16_e32 v14, v10, v11
	v_sub_f16_e32 v10, v11, v10
	s_waitcnt vmcnt(0)
	v_lshrrev_b32_e32 v11, 16, v7
	v_fma_f16 v16, v13, v11, v15
	v_fma_f16 v18, v14, v11, v10
	v_fma_f16 v15, -v13, v11, v15
	v_fma_f16 v19, v14, v11, -v10
	v_fma_f16 v10, -v7, v14, v16
	v_fma_f16 v11, v13, v7, v18
	v_fma_f16 v14, v7, v14, v15
	v_fma_f16 v7, v13, v7, v19
	v_pack_b32_f16 v7, v14, v7
	ds_write_b32 v9, v7 offset:336
	v_mov_b32_e32 v7, v6
	v_mov_b32_e32 v6, v5
.LBB0_16:
	s_andn2_saveexec_b64 s[0:1], s[2:3]
	s_cbranch_execz .LBB0_18
; %bb.17:
	ds_read_b32 v6, v0 offset:168
	s_mov_b32 s2, 0xc0004000
	s_waitcnt lgkmcnt(0)
	v_pk_mul_f16 v13, v6, s2
	v_mov_b32_e32 v6, 0
	v_mov_b32_e32 v7, 0
	ds_write_b32 v0, v13 offset:168
.LBB0_18:
	s_or_b64 exec, exec, s[0:1]
	s_add_u32 s0, s12, 0x134
	v_lshlrev_b64 v[6:7], 2, v[6:7]
	s_addc_u32 s1, s13, 0
	v_mov_b32_e32 v13, s1
	v_add_co_u32_e64 v6, s[0:1], s0, v6
	v_addc_co_u32_e64 v7, s[0:1], v13, v7, s[0:1]
	global_load_dword v13, v[6:7], off offset:48
	global_load_dword v14, v[6:7], off offset:96
	s_mov_b32 s0, 0x5040100
	v_perm_b32 v10, v11, v10, s0
	ds_write_b32 v17, v10
	ds_read_b32 v10, v17 offset:48
	ds_read_b32 v11, v9 offset:288
	v_cmp_gt_u32_e64 s[0:1], 6, v5
	s_waitcnt lgkmcnt(0)
	v_add_f16_e32 v15, v10, v11
	v_add_f16_sdwa v16, v11, v10 dst_sel:DWORD dst_unused:UNUSED_PAD src0_sel:WORD_1 src1_sel:WORD_1
	v_sub_f16_e32 v18, v10, v11
	v_sub_f16_sdwa v10, v10, v11 dst_sel:DWORD dst_unused:UNUSED_PAD src0_sel:WORD_1 src1_sel:WORD_1
	s_waitcnt vmcnt(1)
	v_lshrrev_b32_e32 v11, 16, v13
	v_fma_f16 v19, v18, v11, v15
	v_fma_f16 v20, v16, v11, v10
	v_fma_f16 v15, -v18, v11, v15
	v_fma_f16 v10, v16, v11, -v10
	v_fma_f16 v11, -v13, v16, v19
	v_fma_f16 v19, v18, v13, v20
	v_fma_f16 v15, v13, v16, v15
	;; [unrolled: 1-line block ×3, first 2 shown]
	v_pack_b32_f16 v11, v11, v19
	v_pack_b32_f16 v10, v15, v10
	ds_write_b32 v17, v11 offset:48
	ds_write_b32 v9, v10 offset:288
	ds_read_b32 v10, v17 offset:96
	ds_read_b32 v11, v9 offset:240
	s_waitcnt vmcnt(0)
	v_lshrrev_b32_e32 v13, 16, v14
	s_waitcnt lgkmcnt(0)
	v_add_f16_e32 v15, v10, v11
	v_add_f16_sdwa v16, v11, v10 dst_sel:DWORD dst_unused:UNUSED_PAD src0_sel:WORD_1 src1_sel:WORD_1
	v_sub_f16_e32 v18, v10, v11
	v_sub_f16_sdwa v10, v10, v11 dst_sel:DWORD dst_unused:UNUSED_PAD src0_sel:WORD_1 src1_sel:WORD_1
	v_fma_f16 v11, v18, v13, v15
	v_fma_f16 v19, v16, v13, v10
	v_fma_f16 v15, -v18, v13, v15
	v_fma_f16 v10, v16, v13, -v10
	v_fma_f16 v11, -v14, v16, v11
	v_fma_f16 v13, v18, v14, v19
	v_fma_f16 v15, v14, v16, v15
	;; [unrolled: 1-line block ×3, first 2 shown]
	v_pack_b32_f16 v11, v11, v13
	v_pack_b32_f16 v10, v15, v10
	ds_write_b32 v17, v11 offset:96
	ds_write_b32 v9, v10 offset:240
	s_and_saveexec_b64 s[2:3], s[0:1]
	s_cbranch_execz .LBB0_20
; %bb.19:
	global_load_dword v6, v[6:7], off offset:144
	ds_read_b32 v7, v17 offset:144
	ds_read_b32 v10, v9 offset:192
	s_waitcnt lgkmcnt(0)
	v_add_f16_e32 v11, v7, v10
	v_add_f16_sdwa v13, v10, v7 dst_sel:DWORD dst_unused:UNUSED_PAD src0_sel:WORD_1 src1_sel:WORD_1
	v_sub_f16_e32 v14, v7, v10
	v_sub_f16_sdwa v7, v7, v10 dst_sel:DWORD dst_unused:UNUSED_PAD src0_sel:WORD_1 src1_sel:WORD_1
	s_waitcnt vmcnt(0)
	v_lshrrev_b32_e32 v10, 16, v6
	v_fma_f16 v15, v14, v10, v11
	v_fma_f16 v16, v13, v10, v7
	v_fma_f16 v11, -v14, v10, v11
	v_fma_f16 v7, v13, v10, -v7
	v_fma_f16 v10, -v6, v13, v15
	v_fma_f16 v15, v14, v6, v16
	v_fma_f16 v11, v6, v13, v11
	v_fma_f16 v6, v14, v6, v7
	v_pack_b32_f16 v7, v10, v15
	v_pack_b32_f16 v6, v11, v6
	ds_write_b32 v17, v7 offset:144
	ds_write_b32 v9, v6 offset:192
.LBB0_20:
	s_or_b64 exec, exec, s[2:3]
	v_add3_u32 v16, 0, v8, v12
	s_waitcnt lgkmcnt(0)
	s_barrier
	s_barrier
	ds_read2_b32 v[6:7], v16 offset0:12 offset1:24
	ds_read2_b32 v[8:9], v16 offset0:60 offset1:72
	;; [unrolled: 1-line block ×3, first 2 shown]
	ds_read_b32 v14, v17
	s_movk_i32 s2, 0x3a52
	s_mov_b32 s3, 0xbb00
	s_waitcnt lgkmcnt(2)
	v_pk_add_f16 v15, v6, v9
	v_pk_add_f16 v18, v7, v8
	s_waitcnt lgkmcnt(1)
	v_pk_add_f16 v19, v10, v11
	v_pk_add_f16 v20, v18, v15
	v_pk_add_f16 v6, v6, v9 neg_lo:[0,1] neg_hi:[0,1]
	v_pk_add_f16 v7, v7, v8 neg_lo:[0,1] neg_hi:[0,1]
	v_pk_add_f16 v20, v19, v20
	v_pk_add_f16 v8, v11, v10 neg_lo:[0,1] neg_hi:[0,1]
	v_pk_add_f16 v10, v15, v19 neg_lo:[0,1] neg_hi:[0,1]
	v_pk_add_f16 v21, v7, v6 neg_lo:[0,1] neg_hi:[0,1]
	s_waitcnt lgkmcnt(0)
	v_pk_add_f16 v14, v14, v20
	v_pk_add_f16 v9, v18, v15 neg_lo:[0,1] neg_hi:[0,1]
	v_pk_mul_f16 v10, v10, s2 op_sel_hi:[1,0]
	s_movk_i32 s2, 0x39e0
	v_pk_mul_f16 v21, v21, s3 op_sel_hi:[1,0]
	s_mov_b32 s3, 0xbcab
	v_pk_add_f16 v11, v8, v7
	v_pk_add_f16 v15, v6, v8 neg_lo:[0,1] neg_hi:[0,1]
	v_pk_mul_f16 v9, v9, s2 op_sel_hi:[1,0]
	s_mov_b32 s2, 0xb574
	v_pk_fma_f16 v20, v20, s3, v14 op_sel_hi:[1,0,1]
	v_pk_add_f16 v18, v19, v18 neg_lo:[0,1] neg_hi:[0,1]
	v_pk_add_f16 v7, v8, v7 neg_lo:[0,1] neg_hi:[0,1]
	s_movk_i32 s3, 0x2b26
	s_movk_i32 s7, 0x3846
	v_pk_add_f16 v6, v11, v6
	v_pk_mul_f16 v11, v15, s2 op_sel_hi:[1,0]
	v_pk_add_f16 v22, v10, v9 op_sel:[1,1] op_sel_hi:[0,0] neg_lo:[1,1] neg_hi:[1,1]
	v_pk_fma_f16 v15, v15, s2, v21 op_sel_hi:[1,0,1] neg_lo:[1,0,1] neg_hi:[1,0,1]
	s_mov_b32 s2, 0xb70e
	v_pk_fma_f16 v8, v18, s3, v9 op_sel_hi:[1,0,1] neg_lo:[1,0,0] neg_hi:[1,0,0]
	v_pk_fma_f16 v9, v7, s7, v21 op_sel_hi:[1,0,1] neg_lo:[1,0,0] neg_hi:[1,0,0]
	v_pk_add_f16 v22, v22, v20 op_sel:[0,1] op_sel_hi:[1,0]
	v_pk_fma_f16 v15, v6, s2, v15 op_sel_hi:[1,0,1]
	v_pk_add_f16 v8, v8, v20
	v_pk_fma_f16 v9, v6, s2, v9 op_sel_hi:[1,0,1]
	v_pk_add_f16 v23, v22, v15
	v_pk_add_f16 v15, v22, v15 neg_lo:[0,1] neg_hi:[0,1]
	v_pk_add_f16 v19, v8, v9 op_sel:[0,1] op_sel_hi:[1,0] neg_lo:[0,1] neg_hi:[0,1]
	v_pk_add_f16 v8, v8, v9 op_sel:[0,1] op_sel_hi:[1,0]
	s_mov_b32 s6, 0xffff
	v_mad_u32_u24 v13, v5, 24, v16
	v_alignbit_b32 v22, v15, v23, 16
	v_bfi_b32 v9, s6, v19, v8
	s_barrier
	ds_write2_b32 v13, v22, v9 offset0:2 offset1:3
	v_bfi_b32 v8, s6, v8, v19
	v_alignbit_b32 v9, v23, v15, 16
	ds_write2_b32 v13, v8, v9 offset0:4 offset1:5
	v_pk_fma_f16 v8, v18, s3, v10 op_sel_hi:[1,0,1]
	v_pk_fma_f16 v7, v7, s7, v11 op_sel_hi:[1,0,1]
	v_pk_add_f16 v8, v8, v20
	v_pk_fma_f16 v6, v6, s2, v7 op_sel_hi:[1,0,1]
	v_pk_add_f16 v7, v8, v6 op_sel:[0,1] op_sel_hi:[1,0]
	v_pk_add_f16 v6, v8, v6 op_sel:[0,1] op_sel_hi:[1,0] neg_lo:[0,1] neg_hi:[0,1]
	v_bfi_b32 v8, s6, v6, v7
	v_bfi_b32 v9, s6, v7, v6
	ds_write2_b32 v13, v14, v9 offset1:1
	ds_write_b32 v13, v8 offset:24
	s_waitcnt lgkmcnt(0)
	s_barrier
	ds_read2_b32 v[10:11], v16 offset0:42 offset1:54
	ds_read2_b32 v[8:9], v16 offset0:12 offset1:24
	ds_read_b32 v13, v17
	ds_read_b32 v15, v16 offset:264
	v_lshrrev_b32_e32 v14, 16, v7
                                        ; implicit-def: $vgpr19
	s_and_saveexec_b64 s[2:3], s[0:1]
	s_cbranch_execz .LBB0_22
; %bb.21:
	ds_read2_b32 v[6:7], v16 offset0:36 offset1:78
	s_waitcnt lgkmcnt(0)
	v_lshrrev_b32_e32 v14, 16, v6
	v_lshrrev_b32_e32 v19, 16, v7
.LBB0_22:
	s_or_b64 exec, exec, s[2:3]
	v_add_u32_e32 v20, -7, v5
	v_cmp_gt_u32_e64 s[2:3], 7, v5
	v_cndmask_b32_e64 v20, v20, v5, s[2:3]
	v_mov_b32_e32 v21, 0
	v_lshlrev_b64 v[21:22], 2, v[20:21]
	v_add_u16_e32 v26, 24, v5
	v_add_co_u32_e64 v23, s[2:3], s12, v21
	v_mov_b32_e32 v21, 37
	v_mul_lo_u16_sdwa v27, v26, v21 dst_sel:DWORD dst_unused:UNUSED_PAD src0_sel:BYTE_0 src1_sel:DWORD
	v_sub_u16_sdwa v28, v26, v27 dst_sel:DWORD dst_unused:UNUSED_PAD src0_sel:DWORD src1_sel:BYTE_1
	v_lshrrev_b16_e32 v28, 1, v28
	v_and_b32_e32 v28, 0x7f, v28
	v_add_u16_sdwa v27, v28, v27 dst_sel:DWORD dst_unused:UNUSED_PAD src0_sel:DWORD src1_sel:BYTE_1
	v_lshrrev_b16_e32 v27, 2, v27
	v_mul_lo_u16_e32 v28, 7, v27
	v_add_u32_e32 v18, 12, v5
	v_mov_b32_e32 v24, s13
	v_sub_u16_e32 v26, v26, v28
	v_add_u16_e32 v28, 36, v5
	v_addc_co_u32_e64 v24, s[2:3], v24, v22, s[2:3]
	v_mul_lo_u16_sdwa v22, v18, v21 dst_sel:DWORD dst_unused:UNUSED_PAD src0_sel:BYTE_0 src1_sel:DWORD
	v_mul_lo_u16_sdwa v21, v28, v21 dst_sel:DWORD dst_unused:UNUSED_PAD src0_sel:BYTE_0 src1_sel:DWORD
	v_sub_u16_sdwa v29, v28, v21 dst_sel:DWORD dst_unused:UNUSED_PAD src0_sel:DWORD src1_sel:BYTE_1
	v_sub_u16_sdwa v25, v18, v22 dst_sel:DWORD dst_unused:UNUSED_PAD src0_sel:DWORD src1_sel:BYTE_1
	v_lshrrev_b16_e32 v29, 1, v29
	v_lshrrev_b16_e32 v25, 1, v25
	v_and_b32_e32 v29, 0x7f, v29
	v_and_b32_e32 v25, 0x7f, v25
	v_add_u16_sdwa v21, v29, v21 dst_sel:DWORD dst_unused:UNUSED_PAD src0_sel:DWORD src1_sel:BYTE_1
	v_add_u16_sdwa v22, v25, v22 dst_sel:DWORD dst_unused:UNUSED_PAD src0_sel:DWORD src1_sel:BYTE_1
	v_lshrrev_b16_e32 v21, 2, v21
	v_lshrrev_b16_e32 v22, 2, v22
	v_mul_lo_u16_e32 v21, 7, v21
	v_mul_lo_u16_e32 v25, 7, v22
	v_sub_u16_e32 v21, v28, v21
	v_mov_b32_e32 v28, 2
	v_sub_u16_e32 v25, v18, v25
	v_lshlrev_b32_sdwa v21, v28, v21 dst_sel:DWORD dst_unused:UNUSED_PAD src0_sel:DWORD src1_sel:BYTE_0
	v_lshlrev_b32_sdwa v26, v28, v26 dst_sel:DWORD dst_unused:UNUSED_PAD src0_sel:DWORD src1_sel:BYTE_0
	global_load_dword v29, v21, s[12:13]
	v_lshlrev_b32_sdwa v25, v28, v25 dst_sel:DWORD dst_unused:UNUSED_PAD src0_sel:DWORD src1_sel:BYTE_0
	global_load_dword v28, v26, s[12:13]
	global_load_dword v30, v25, s[12:13]
	global_load_dword v31, v[23:24], off
	v_cmp_lt_u32_e64 s[2:3], 6, v5
	v_cndmask_b32_e64 v23, 0, 56, s[2:3]
	v_add_u32_e32 v23, 0, v23
	v_lshlrev_b32_e32 v20, 2, v20
	v_add3_u32 v23, v23, v20, v12
	v_mad_u32_u24 v20, v22, 56, 0
	v_mad_u32_u24 v22, v27, 56, 0
	v_add3_u32 v24, v20, v25, v12
	v_add3_u32 v22, v22, v26, v12
	s_waitcnt vmcnt(0) lgkmcnt(0)
	s_barrier
	v_pk_mul_f16 v26, v28, v15 op_sel:[0,1]
	v_mul_f16_sdwa v25, v7, v29 dst_sel:DWORD dst_unused:UNUSED_PAD src0_sel:DWORD src1_sel:WORD_1
	v_pk_mul_f16 v27, v30, v11 op_sel:[0,1]
	v_pk_mul_f16 v32, v31, v10 op_sel:[0,1]
	v_mul_f16_sdwa v20, v19, v29 dst_sel:DWORD dst_unused:UNUSED_PAD src0_sel:DWORD src1_sel:WORD_1
	v_fma_f16 v19, v19, v29, -v25
	v_pk_fma_f16 v25, v28, v15, v26 op_sel:[0,0,1] op_sel_hi:[1,1,0]
	v_pk_fma_f16 v15, v28, v15, v26 op_sel:[0,0,1] op_sel_hi:[1,0,0] neg_lo:[1,0,0] neg_hi:[1,0,0]
	v_pk_fma_f16 v26, v30, v11, v27 op_sel:[0,0,1] op_sel_hi:[1,1,0]
	v_pk_fma_f16 v11, v30, v11, v27 op_sel:[0,0,1] op_sel_hi:[1,0,0] neg_lo:[1,0,0] neg_hi:[1,0,0]
	;; [unrolled: 2-line block ×3, first 2 shown]
	v_fma_f16 v7, v7, v29, v20
	v_bfi_b32 v10, s6, v27, v10
	v_sub_f16_e32 v7, v6, v7
	v_sub_f16_e32 v20, v14, v19
	v_bfi_b32 v15, s6, v25, v15
	v_bfi_b32 v11, s6, v26, v11
	v_pk_add_f16 v10, v13, v10 neg_lo:[0,1] neg_hi:[0,1]
	v_fma_f16 v6, v6, 2.0, -v7
	v_fma_f16 v19, v14, 2.0, -v20
	v_pk_add_f16 v14, v9, v15 neg_lo:[0,1] neg_hi:[0,1]
	v_pk_add_f16 v11, v8, v11 neg_lo:[0,1] neg_hi:[0,1]
	v_pk_fma_f16 v13, v13, 2.0, v10 op_sel_hi:[1,0,1] neg_lo:[0,0,1] neg_hi:[0,0,1]
	v_pk_fma_f16 v9, v9, 2.0, v14 op_sel_hi:[1,0,1] neg_lo:[0,0,1] neg_hi:[0,0,1]
	;; [unrolled: 1-line block ×3, first 2 shown]
	ds_write2_b32 v23, v13, v10 offset1:7
	ds_write2_b32 v24, v8, v11 offset1:7
	;; [unrolled: 1-line block ×3, first 2 shown]
	s_and_saveexec_b64 s[2:3], s[0:1]
	s_cbranch_execz .LBB0_24
; %bb.23:
	s_mov_b32 s0, 0x5040100
	v_add3_u32 v8, 0, v21, v12
	v_perm_b32 v9, v19, v6, s0
	v_perm_b32 v10, v20, v7, s0
	ds_write2_b32 v8, v9, v10 offset0:70 offset1:77
.LBB0_24:
	s_or_b64 exec, exec, s[2:3]
	s_waitcnt lgkmcnt(0)
	s_barrier
	ds_read2_b32 v[14:15], v16 offset0:14 offset1:28
	ds_read2_b32 v[12:13], v16 offset0:42 offset1:56
	ds_read_b32 v24, v17
	ds_read_b32 v25, v16 offset:280
	v_cmp_gt_u32_e64 s[0:1], 2, v5
                                        ; implicit-def: $vgpr17
                                        ; implicit-def: $vgpr9
                                        ; implicit-def: $vgpr22
                                        ; implicit-def: $vgpr21
                                        ; implicit-def: $vgpr11
                                        ; implicit-def: $vgpr23
	s_and_saveexec_b64 s[2:3], s[0:1]
	s_cbranch_execz .LBB0_26
; %bb.25:
	ds_read2_b32 v[6:7], v16 offset0:12 offset1:26
	ds_read2_b32 v[10:11], v16 offset0:40 offset1:54
	;; [unrolled: 1-line block ×3, first 2 shown]
	s_waitcnt lgkmcnt(2)
	v_lshrrev_b32_e32 v19, 16, v6
	s_waitcnt lgkmcnt(1)
	v_lshrrev_b32_e32 v21, 16, v11
	;; [unrolled: 2-line block ×3, first 2 shown]
	v_lshrrev_b32_e32 v17, 16, v9
	v_lshrrev_b32_e32 v20, 16, v7
	;; [unrolled: 1-line block ×3, first 2 shown]
.LBB0_26:
	s_or_b64 exec, exec, s[2:3]
	v_mul_u32_u24_e32 v26, 5, v5
	v_lshlrev_b32_e32 v30, 2, v26
	global_load_dwordx4 v[26:29], v30, s[12:13] offset:28
	global_load_dword v31, v30, s[12:13] offset:44
	s_waitcnt lgkmcnt(2)
	v_lshrrev_b32_e32 v33, 16, v13
	v_lshrrev_b32_e32 v34, 16, v12
	;; [unrolled: 1-line block ×4, first 2 shown]
	s_waitcnt lgkmcnt(0)
	v_lshrrev_b32_e32 v32, 16, v25
	v_lshrrev_b32_e32 v30, 16, v24
	s_movk_i32 s6, 0x3aee
	s_mov_b32 s7, 0xbaee
	s_waitcnt vmcnt(0)
	s_barrier
	v_mul_f16_sdwa v37, v26, v36 dst_sel:DWORD dst_unused:UNUSED_PAD src0_sel:WORD_1 src1_sel:DWORD
	v_mul_f16_sdwa v38, v26, v14 dst_sel:DWORD dst_unused:UNUSED_PAD src0_sel:WORD_1 src1_sel:DWORD
	;; [unrolled: 1-line block ×10, first 2 shown]
	v_fma_f16 v36, v26, v36, -v38
	v_fma_f16 v14, v26, v14, v37
	v_fma_f16 v15, v27, v15, v39
	v_fma_f16 v26, v27, v35, -v40
	v_fma_f16 v12, v28, v12, v41
	v_fma_f16 v27, v28, v34, -v42
	;; [unrolled: 2-line block ×3, first 2 shown]
	v_fma_f16 v29, v31, v32, -v46
	v_fma_f16 v25, v31, v25, v45
	v_sub_f16_e32 v38, v27, v29
	v_add_f16_e32 v39, v36, v27
	v_add_f16_e32 v27, v27, v29
	;; [unrolled: 1-line block ×4, first 2 shown]
	v_sub_f16_e32 v33, v26, v28
	v_add_f16_e32 v34, v30, v26
	v_add_f16_e32 v26, v26, v28
	;; [unrolled: 1-line block ×4, first 2 shown]
	v_sub_f16_e32 v12, v12, v25
	v_fma_f16 v27, v27, -0.5, v36
	v_sub_f16_e32 v15, v15, v13
	v_add_f16_e32 v13, v31, v13
	v_fma_f16 v24, v32, -0.5, v24
	v_add_f16_e32 v28, v34, v28
	v_fma_f16 v26, v26, -0.5, v30
	;; [unrolled: 2-line block ×3, first 2 shown]
	v_add_f16_e32 v29, v39, v29
	v_fma_f16 v32, v12, s6, v27
	v_fma_f16 v30, v33, s7, v24
	;; [unrolled: 1-line block ×7, first 2 shown]
	v_add_f16_e32 v27, v13, v25
	v_add_f16_e32 v33, v28, v29
	v_sub_f16_e32 v13, v13, v25
	v_sub_f16_e32 v25, v28, v29
	v_mul_f16_e32 v28, 0xbaee, v32
	v_mul_f16_e32 v32, 0.5, v32
	v_fma_f16 v14, v38, s6, v14
	v_mul_f16_e32 v29, 0xbaee, v12
	v_mul_f16_e32 v12, -0.5, v12
	v_pack_b32_f16 v13, v13, v25
	v_fma_f16 v25, v26, 0.5, v28
	v_fma_f16 v26, v26, s6, v32
	v_fma_f16 v28, v14, -0.5, v29
	v_fma_f16 v12, v14, s6, v12
	v_add_f16_e32 v14, v30, v25
	v_add_f16_e32 v32, v31, v26
	v_pack_b32_f16 v27, v27, v33
	v_add_f16_e32 v29, v24, v28
	v_add_f16_e32 v33, v15, v12
	v_sub_f16_e32 v25, v30, v25
	v_sub_f16_e32 v24, v24, v28
	;; [unrolled: 1-line block ×4, first 2 shown]
	v_pack_b32_f16 v14, v14, v32
	v_pack_b32_f16 v15, v29, v33
	;; [unrolled: 1-line block ×4, first 2 shown]
	ds_write2_b32 v16, v27, v14 offset1:14
	ds_write2_b32 v16, v15, v13 offset0:28 offset1:42
	ds_write2_b32 v16, v25, v12 offset0:56 offset1:70
	s_and_saveexec_b64 s[2:3], s[0:1]
	s_cbranch_execz .LBB0_28
; %bb.27:
	v_add_u32_e32 v12, -2, v5
	v_cndmask_b32_e64 v12, v12, v18, s[0:1]
	v_mul_i32_i24_e32 v12, 5, v12
	v_mov_b32_e32 v13, 0
	v_lshlrev_b64 v[12:13], 2, v[12:13]
	v_mov_b32_e32 v14, s13
	v_add_co_u32_e64 v24, s[0:1], s12, v12
	v_addc_co_u32_e64 v25, s[0:1], v14, v13, s[0:1]
	global_load_dwordx4 v[12:15], v[24:25], off offset:28
	global_load_dword v18, v[24:25], off offset:44
	s_waitcnt vmcnt(1)
	v_mul_f16_sdwa v24, v10, v13 dst_sel:DWORD dst_unused:UNUSED_PAD src0_sel:DWORD src1_sel:WORD_1
	v_mul_f16_sdwa v26, v23, v13 dst_sel:DWORD dst_unused:UNUSED_PAD src0_sel:DWORD src1_sel:WORD_1
	;; [unrolled: 1-line block ×4, first 2 shown]
	s_waitcnt vmcnt(0)
	v_mul_f16_sdwa v32, v9, v18 dst_sel:DWORD dst_unused:UNUSED_PAD src0_sel:DWORD src1_sel:WORD_1
	v_mul_f16_sdwa v25, v8, v15 dst_sel:DWORD dst_unused:UNUSED_PAD src0_sel:DWORD src1_sel:WORD_1
	;; [unrolled: 1-line block ×6, first 2 shown]
	v_fma_f16 v23, v23, v13, -v24
	v_fma_f16 v10, v10, v13, v26
	v_fma_f16 v11, v11, v14, v29
	v_fma_f16 v13, v21, v14, -v31
	v_fma_f16 v14, v17, v18, -v32
	;; [unrolled: 1-line block ×3, first 2 shown]
	v_fma_f16 v8, v8, v15, v27
	v_fma_f16 v7, v7, v12, v28
	;; [unrolled: 1-line block ×3, first 2 shown]
	v_fma_f16 v12, v20, v12, -v33
	v_add_f16_e32 v21, v13, v14
	v_add_f16_e32 v15, v23, v22
	v_sub_f16_e32 v17, v10, v8
	v_add_f16_e32 v18, v11, v9
	v_sub_f16_e32 v20, v13, v14
	v_sub_f16_e32 v24, v11, v9
	v_add_f16_e32 v25, v19, v23
	v_add_f16_e32 v13, v12, v13
	;; [unrolled: 1-line block ×5, first 2 shown]
	v_fma_f16 v12, v21, -0.5, v12
	v_fma_f16 v15, v15, -0.5, v19
	;; [unrolled: 1-line block ×3, first 2 shown]
	v_add_f16_e32 v18, v25, v22
	v_add_f16_e32 v13, v13, v14
	;; [unrolled: 1-line block ×4, first 2 shown]
	v_fma_f16 v14, v24, s7, v12
	v_fma_f16 v12, v24, s6, v12
	v_sub_f16_e32 v23, v23, v22
	v_fma_f16 v6, v26, -0.5, v6
	v_fma_f16 v10, v17, s7, v15
	v_fma_f16 v11, v20, s6, v7
	;; [unrolled: 1-line block ×4, first 2 shown]
	v_sub_f16_e32 v17, v18, v13
	v_sub_f16_e32 v20, v8, v9
	v_add_f16_e32 v13, v18, v13
	v_add_f16_e32 v8, v8, v9
	v_mul_f16_e32 v9, -0.5, v14
	v_mul_f16_e32 v18, 0.5, v12
	v_mul_f16_e32 v12, 0xbaee, v12
	v_fma_f16 v19, v23, s6, v6
	v_fma_f16 v6, v23, s7, v6
	v_mul_f16_e32 v14, 0xbaee, v14
	v_pack_b32_f16 v8, v8, v13
	v_pack_b32_f16 v13, v20, v17
	v_fma_f16 v9, v11, s6, v9
	v_fma_f16 v17, v7, s6, v18
	v_fma_f16 v7, v7, 0.5, v12
	v_fma_f16 v11, v11, -0.5, v14
	v_sub_f16_e32 v12, v10, v9
	v_sub_f16_e32 v20, v6, v7
	v_add_f16_e32 v9, v10, v9
	v_add_f16_e32 v10, v15, v17
	;; [unrolled: 1-line block ×3, first 2 shown]
	v_sub_f16_e32 v14, v15, v17
	v_sub_f16_e32 v18, v19, v11
	v_add_f16_e32 v11, v19, v11
	v_pack_b32_f16 v6, v6, v10
	v_pack_b32_f16 v7, v11, v9
	;; [unrolled: 1-line block ×4, first 2 shown]
	ds_write2_b32 v16, v8, v6 offset0:12 offset1:26
	ds_write2_b32 v16, v7, v13 offset0:40 offset1:54
	;; [unrolled: 1-line block ×3, first 2 shown]
.LBB0_28:
	s_or_b64 exec, exec, s[2:3]
	s_waitcnt lgkmcnt(0)
	s_barrier
	s_and_saveexec_b64 s[0:1], vcc
	s_cbranch_execz .LBB0_30
; %bb.29:
	v_mul_lo_u32 v6, s5, v3
	v_mul_lo_u32 v7, s4, v4
	v_mad_u64_u32 v[3:4], s[0:1], s4, v3, 0
	v_add3_u32 v4, v4, v7, v6
	v_lshlrev_b64 v[3:4], 2, v[3:4]
	v_lshl_add_u32 v7, v5, 2, v0
	v_mov_b32_e32 v0, s11
	v_add_co_u32_e32 v3, vcc, s10, v3
	v_addc_co_u32_e32 v4, vcc, v0, v4, vcc
	v_lshlrev_b64 v[0:1], 2, v[1:2]
	v_mov_b32_e32 v6, 0
	v_add_co_u32_e32 v8, vcc, v3, v0
	ds_read2_b32 v[2:3], v7 offset1:12
	v_addc_co_u32_e32 v4, vcc, v4, v1, vcc
	v_lshlrev_b64 v[0:1], 2, v[5:6]
	v_add_co_u32_e32 v0, vcc, v8, v0
	v_addc_co_u32_e32 v1, vcc, v4, v1, vcc
	s_waitcnt lgkmcnt(0)
	global_store_dword v[0:1], v2, off
	v_add_u32_e32 v0, 12, v5
	v_mov_b32_e32 v1, v6
	v_lshlrev_b64 v[0:1], 2, v[0:1]
	v_add_co_u32_e32 v0, vcc, v8, v0
	v_addc_co_u32_e32 v1, vcc, v4, v1, vcc
	global_store_dword v[0:1], v3, off
	v_add_u32_e32 v0, 24, v5
	v_mov_b32_e32 v1, v6
	ds_read2_b32 v[2:3], v7 offset0:24 offset1:36
	v_lshlrev_b64 v[0:1], 2, v[0:1]
	v_add_co_u32_e32 v0, vcc, v8, v0
	v_addc_co_u32_e32 v1, vcc, v4, v1, vcc
	s_waitcnt lgkmcnt(0)
	global_store_dword v[0:1], v2, off
	v_add_u32_e32 v0, 36, v5
	v_mov_b32_e32 v1, v6
	v_lshlrev_b64 v[0:1], 2, v[0:1]
	v_add_co_u32_e32 v0, vcc, v8, v0
	v_addc_co_u32_e32 v1, vcc, v4, v1, vcc
	global_store_dword v[0:1], v3, off
	v_add_u32_e32 v0, 48, v5
	v_mov_b32_e32 v1, v6
	ds_read2_b32 v[2:3], v7 offset0:48 offset1:60
	v_lshlrev_b64 v[0:1], 2, v[0:1]
	v_add_co_u32_e32 v0, vcc, v8, v0
	v_addc_co_u32_e32 v1, vcc, v4, v1, vcc
	s_waitcnt lgkmcnt(0)
	global_store_dword v[0:1], v2, off
	v_add_u32_e32 v0, 60, v5
	v_mov_b32_e32 v1, v6
	v_lshlrev_b64 v[0:1], 2, v[0:1]
	v_add_u32_e32 v5, 0x48, v5
	v_add_co_u32_e32 v0, vcc, v8, v0
	v_addc_co_u32_e32 v1, vcc, v4, v1, vcc
	ds_read_b32 v2, v7 offset:288
	global_store_dword v[0:1], v3, off
	v_lshlrev_b64 v[0:1], 2, v[5:6]
	v_add_co_u32_e32 v0, vcc, v8, v0
	v_addc_co_u32_e32 v1, vcc, v4, v1, vcc
	s_waitcnt lgkmcnt(0)
	global_store_dword v[0:1], v2, off
.LBB0_30:
	s_endpgm
	.section	.rodata,"a",@progbits
	.p2align	6, 0x0
	.amdhsa_kernel fft_rtc_back_len84_factors_7_2_6_wgs_120_tpt_12_halfLds_half_op_CI_CI_unitstride_sbrr_C2R_dirReg
		.amdhsa_group_segment_fixed_size 0
		.amdhsa_private_segment_fixed_size 0
		.amdhsa_kernarg_size 104
		.amdhsa_user_sgpr_count 6
		.amdhsa_user_sgpr_private_segment_buffer 1
		.amdhsa_user_sgpr_dispatch_ptr 0
		.amdhsa_user_sgpr_queue_ptr 0
		.amdhsa_user_sgpr_kernarg_segment_ptr 1
		.amdhsa_user_sgpr_dispatch_id 0
		.amdhsa_user_sgpr_flat_scratch_init 0
		.amdhsa_user_sgpr_private_segment_size 0
		.amdhsa_uses_dynamic_stack 0
		.amdhsa_system_sgpr_private_segment_wavefront_offset 0
		.amdhsa_system_sgpr_workgroup_id_x 1
		.amdhsa_system_sgpr_workgroup_id_y 0
		.amdhsa_system_sgpr_workgroup_id_z 0
		.amdhsa_system_sgpr_workgroup_info 0
		.amdhsa_system_vgpr_workitem_id 0
		.amdhsa_next_free_vgpr 47
		.amdhsa_next_free_sgpr 28
		.amdhsa_reserve_vcc 1
		.amdhsa_reserve_flat_scratch 0
		.amdhsa_float_round_mode_32 0
		.amdhsa_float_round_mode_16_64 0
		.amdhsa_float_denorm_mode_32 3
		.amdhsa_float_denorm_mode_16_64 3
		.amdhsa_dx10_clamp 1
		.amdhsa_ieee_mode 1
		.amdhsa_fp16_overflow 0
		.amdhsa_exception_fp_ieee_invalid_op 0
		.amdhsa_exception_fp_denorm_src 0
		.amdhsa_exception_fp_ieee_div_zero 0
		.amdhsa_exception_fp_ieee_overflow 0
		.amdhsa_exception_fp_ieee_underflow 0
		.amdhsa_exception_fp_ieee_inexact 0
		.amdhsa_exception_int_div_zero 0
	.end_amdhsa_kernel
	.text
.Lfunc_end0:
	.size	fft_rtc_back_len84_factors_7_2_6_wgs_120_tpt_12_halfLds_half_op_CI_CI_unitstride_sbrr_C2R_dirReg, .Lfunc_end0-fft_rtc_back_len84_factors_7_2_6_wgs_120_tpt_12_halfLds_half_op_CI_CI_unitstride_sbrr_C2R_dirReg
                                        ; -- End function
	.section	.AMDGPU.csdata,"",@progbits
; Kernel info:
; codeLenInByte = 5256
; NumSgprs: 32
; NumVgprs: 47
; ScratchSize: 0
; MemoryBound: 0
; FloatMode: 240
; IeeeMode: 1
; LDSByteSize: 0 bytes/workgroup (compile time only)
; SGPRBlocks: 3
; VGPRBlocks: 11
; NumSGPRsForWavesPerEU: 32
; NumVGPRsForWavesPerEU: 47
; Occupancy: 5
; WaveLimiterHint : 1
; COMPUTE_PGM_RSRC2:SCRATCH_EN: 0
; COMPUTE_PGM_RSRC2:USER_SGPR: 6
; COMPUTE_PGM_RSRC2:TRAP_HANDLER: 0
; COMPUTE_PGM_RSRC2:TGID_X_EN: 1
; COMPUTE_PGM_RSRC2:TGID_Y_EN: 0
; COMPUTE_PGM_RSRC2:TGID_Z_EN: 0
; COMPUTE_PGM_RSRC2:TIDIG_COMP_CNT: 0
	.type	__hip_cuid_f99588e197002e1d,@object ; @__hip_cuid_f99588e197002e1d
	.section	.bss,"aw",@nobits
	.globl	__hip_cuid_f99588e197002e1d
__hip_cuid_f99588e197002e1d:
	.byte	0                               ; 0x0
	.size	__hip_cuid_f99588e197002e1d, 1

	.ident	"AMD clang version 19.0.0git (https://github.com/RadeonOpenCompute/llvm-project roc-6.4.0 25133 c7fe45cf4b819c5991fe208aaa96edf142730f1d)"
	.section	".note.GNU-stack","",@progbits
	.addrsig
	.addrsig_sym __hip_cuid_f99588e197002e1d
	.amdgpu_metadata
---
amdhsa.kernels:
  - .args:
      - .actual_access:  read_only
        .address_space:  global
        .offset:         0
        .size:           8
        .value_kind:     global_buffer
      - .offset:         8
        .size:           8
        .value_kind:     by_value
      - .actual_access:  read_only
        .address_space:  global
        .offset:         16
        .size:           8
        .value_kind:     global_buffer
      - .actual_access:  read_only
        .address_space:  global
        .offset:         24
        .size:           8
        .value_kind:     global_buffer
      - .actual_access:  read_only
        .address_space:  global
        .offset:         32
        .size:           8
        .value_kind:     global_buffer
      - .offset:         40
        .size:           8
        .value_kind:     by_value
      - .actual_access:  read_only
        .address_space:  global
        .offset:         48
        .size:           8
        .value_kind:     global_buffer
      - .actual_access:  read_only
        .address_space:  global
        .offset:         56
        .size:           8
        .value_kind:     global_buffer
      - .offset:         64
        .size:           4
        .value_kind:     by_value
      - .actual_access:  read_only
        .address_space:  global
        .offset:         72
        .size:           8
        .value_kind:     global_buffer
      - .actual_access:  read_only
        .address_space:  global
        .offset:         80
        .size:           8
        .value_kind:     global_buffer
      - .actual_access:  read_only
        .address_space:  global
        .offset:         88
        .size:           8
        .value_kind:     global_buffer
      - .actual_access:  write_only
        .address_space:  global
        .offset:         96
        .size:           8
        .value_kind:     global_buffer
    .group_segment_fixed_size: 0
    .kernarg_segment_align: 8
    .kernarg_segment_size: 104
    .language:       OpenCL C
    .language_version:
      - 2
      - 0
    .max_flat_workgroup_size: 120
    .name:           fft_rtc_back_len84_factors_7_2_6_wgs_120_tpt_12_halfLds_half_op_CI_CI_unitstride_sbrr_C2R_dirReg
    .private_segment_fixed_size: 0
    .sgpr_count:     32
    .sgpr_spill_count: 0
    .symbol:         fft_rtc_back_len84_factors_7_2_6_wgs_120_tpt_12_halfLds_half_op_CI_CI_unitstride_sbrr_C2R_dirReg.kd
    .uniform_work_group_size: 1
    .uses_dynamic_stack: false
    .vgpr_count:     47
    .vgpr_spill_count: 0
    .wavefront_size: 64
amdhsa.target:   amdgcn-amd-amdhsa--gfx906
amdhsa.version:
  - 1
  - 2
...

	.end_amdgpu_metadata
